;; amdgpu-corpus repo=ParRes/Kernels kind=compiled arch=gfx90a opt=O3
	.text
	.amdgcn_target "amdgcn-amd-amdhsa--gfx90a"
	.amdhsa_code_object_version 6
	.protected	_Z4initiiPfS_S_         ; -- Begin function _Z4initiiPfS_S_
	.globl	_Z4initiiPfS_S_
	.p2align	8
	.type	_Z4initiiPfS_S_,@function
_Z4initiiPfS_S_:                        ; @_Z4initiiPfS_S_
; %bb.0:
	s_load_dwordx2 s[2:3], s[4:5], 0x0
	s_waitcnt lgkmcnt(0)
	s_cmp_lt_i32 s3, 1
	s_cbranch_scc1 .LBB0_5
; %bb.1:
	s_load_dword s0, s[4:5], 0x2c
	s_load_dwordx4 s[8:11], s[4:5], 0x8
	s_load_dwordx2 s[12:13], s[4:5], 0x18
	v_and_b32_e32 v1, 0x3ff, v0
	v_bfe_u32 v0, v0, 10, 10
	s_waitcnt lgkmcnt(0)
	s_lshr_b32 s1, s0, 16
	s_and_b32 s0, s0, 0xffff
	s_mul_i32 s6, s6, s0
	s_mul_i32 s7, s7, s1
	v_add_u32_e32 v1, s6, v1
	v_add_u32_e32 v2, s7, v0
	v_max_u32_e32 v2, v1, v2
	v_cmp_gt_u32_e32 vcc, s2, v2
	v_cvt_f32_u32_e32 v2, v1
	v_mul_lo_u32 v1, s2, v1
	v_add3_u32 v0, v0, v1, s7
	s_mul_i32 s2, s2, s2
	v_mov_b32_e32 v1, 0
	s_branch .LBB0_3
.LBB0_2:                                ;   in Loop: Header=BB0_3 Depth=1
	s_or_b64 exec, exec, s[4:5]
	s_add_i32 s3, s3, -1
	s_cmp_eq_u32 s3, 0
	v_add_u32_e32 v0, s2, v0
	s_cbranch_scc1 .LBB0_5
.LBB0_3:                                ; =>This Inner Loop Header: Depth=1
	s_and_saveexec_b64 s[4:5], vcc
	s_cbranch_execz .LBB0_2
; %bb.4:                                ;   in Loop: Header=BB0_3 Depth=1
	v_lshlrev_b64 v[4:5], 2, v[0:1]
	v_mov_b32_e32 v3, s9
	v_add_co_u32_e64 v6, s[0:1], s8, v4
	v_addc_co_u32_e64 v7, s[0:1], v3, v5, s[0:1]
	global_store_dword v[6:7], v2, off
	v_mov_b32_e32 v3, s11
	v_add_co_u32_e64 v6, s[0:1], s10, v4
	v_addc_co_u32_e64 v7, s[0:1], v3, v5, s[0:1]
	v_mov_b32_e32 v3, s13
	v_add_co_u32_e64 v4, s[0:1], s12, v4
	v_addc_co_u32_e64 v5, s[0:1], v3, v5, s[0:1]
	global_store_dword v[6:7], v2, off
	global_store_dword v[4:5], v1, off
	s_branch .LBB0_2
.LBB0_5:
	s_endpgm
	.section	.rodata,"a",@progbits
	.p2align	6, 0x0
	.amdhsa_kernel _Z4initiiPfS_S_
		.amdhsa_group_segment_fixed_size 0
		.amdhsa_private_segment_fixed_size 0
		.amdhsa_kernarg_size 288
		.amdhsa_user_sgpr_count 6
		.amdhsa_user_sgpr_private_segment_buffer 1
		.amdhsa_user_sgpr_dispatch_ptr 0
		.amdhsa_user_sgpr_queue_ptr 0
		.amdhsa_user_sgpr_kernarg_segment_ptr 1
		.amdhsa_user_sgpr_dispatch_id 0
		.amdhsa_user_sgpr_flat_scratch_init 0
		.amdhsa_user_sgpr_kernarg_preload_length 0
		.amdhsa_user_sgpr_kernarg_preload_offset 0
		.amdhsa_user_sgpr_private_segment_size 0
		.amdhsa_uses_dynamic_stack 0
		.amdhsa_system_sgpr_private_segment_wavefront_offset 0
		.amdhsa_system_sgpr_workgroup_id_x 1
		.amdhsa_system_sgpr_workgroup_id_y 1
		.amdhsa_system_sgpr_workgroup_id_z 0
		.amdhsa_system_sgpr_workgroup_info 0
		.amdhsa_system_vgpr_workitem_id 1
		.amdhsa_next_free_vgpr 8
		.amdhsa_next_free_sgpr 14
		.amdhsa_accum_offset 8
		.amdhsa_reserve_vcc 1
		.amdhsa_reserve_flat_scratch 0
		.amdhsa_float_round_mode_32 0
		.amdhsa_float_round_mode_16_64 0
		.amdhsa_float_denorm_mode_32 3
		.amdhsa_float_denorm_mode_16_64 3
		.amdhsa_dx10_clamp 1
		.amdhsa_ieee_mode 1
		.amdhsa_fp16_overflow 0
		.amdhsa_tg_split 0
		.amdhsa_exception_fp_ieee_invalid_op 0
		.amdhsa_exception_fp_denorm_src 0
		.amdhsa_exception_fp_ieee_div_zero 0
		.amdhsa_exception_fp_ieee_overflow 0
		.amdhsa_exception_fp_ieee_underflow 0
		.amdhsa_exception_fp_ieee_inexact 0
		.amdhsa_exception_int_div_zero 0
	.end_amdhsa_kernel
	.text
.Lfunc_end0:
	.size	_Z4initiiPfS_S_, .Lfunc_end0-_Z4initiiPfS_S_
                                        ; -- End function
	.section	.AMDGPU.csdata,"",@progbits
; Kernel info:
; codeLenInByte = 260
; NumSgprs: 18
; NumVgprs: 8
; NumAgprs: 0
; TotalNumVgprs: 8
; ScratchSize: 0
; MemoryBound: 0
; FloatMode: 240
; IeeeMode: 1
; LDSByteSize: 0 bytes/workgroup (compile time only)
; SGPRBlocks: 2
; VGPRBlocks: 0
; NumSGPRsForWavesPerEU: 18
; NumVGPRsForWavesPerEU: 8
; AccumOffset: 8
; Occupancy: 8
; WaveLimiterHint : 0
; COMPUTE_PGM_RSRC2:SCRATCH_EN: 0
; COMPUTE_PGM_RSRC2:USER_SGPR: 6
; COMPUTE_PGM_RSRC2:TRAP_HANDLER: 0
; COMPUTE_PGM_RSRC2:TGID_X_EN: 1
; COMPUTE_PGM_RSRC2:TGID_Y_EN: 1
; COMPUTE_PGM_RSRC2:TGID_Z_EN: 0
; COMPUTE_PGM_RSRC2:TIDIG_COMP_CNT: 1
; COMPUTE_PGM_RSRC3_GFX90A:ACCUM_OFFSET: 1
; COMPUTE_PGM_RSRC3_GFX90A:TG_SPLIT: 0
	.text
	.protected	_Z4initiiPf             ; -- Begin function _Z4initiiPf
	.globl	_Z4initiiPf
	.p2align	8
	.type	_Z4initiiPf,@function
_Z4initiiPf:                            ; @_Z4initiiPf
; %bb.0:
	s_load_dwordx2 s[8:9], s[4:5], 0x0
	s_waitcnt lgkmcnt(0)
	s_cmp_lt_i32 s9, 1
	s_cbranch_scc1 .LBB1_16
; %bb.1:
	s_load_dword s0, s[4:5], 0x1c
	s_load_dwordx2 s[2:3], s[4:5], 0x8
	v_and_b32_e32 v4, 0x3ff, v0
	v_bfe_u32 v5, v0, 10, 10
	s_mul_i32 s10, s8, s8
	s_waitcnt lgkmcnt(0)
	s_lshr_b32 s1, s0, 16
	s_and_b32 s0, s0, 0xffff
	s_mul_i32 s11, s6, s0
	s_mul_i32 s12, s7, s1
	v_add_u32_e32 v2, s11, v4
	v_add_u32_e32 v0, s12, v5
	v_max_u32_e32 v1, v2, v0
	v_cmp_gt_u32_e64 s[0:1], s8, v1
	s_cmp_gt_u32 s9, 21
	s_cbranch_scc0 .LBB1_7
; %bb.2:
	s_mul_i32 s13, s8, s8
	v_mad_u64_u32 v[6:7], s[4:5], v2, s8, v[0:1]
	s_add_i32 s6, s9, -1
	s_abs_i32 s4, s13
	s_mul_i32 s7, s4, s6
	s_mul_hi_u32 s4, s4, s6
	s_cmp_eq_u32 s4, 0
	s_cselect_b64 s[4:5], -1, 0
	s_not_b32 s6, s13
	s_ashr_i32 s6, s6, 31
	v_xor_b32_e32 v1, s6, v6
	v_cmp_le_u32_e32 vcc, s7, v1
	s_mov_b32 s14, 0
	s_and_b64 s[16:17], vcc, s[4:5]
	s_mov_b64 s[6:7], -1
	v_mov_b32_e32 v1, 0
	s_and_saveexec_b64 s[4:5], s[16:17]
	s_cbranch_execz .LBB1_10
; %bb.3:
	s_and_b32 s15, s9, 0x7ffffffe
	s_mov_b32 s16, s8
	s_mov_b32 s17, s8
	v_mov_b32_e32 v3, v2
	v_mov_b32_e32 v1, v0
	s_mov_b32 s18, 1
	v_mov_b32_e32 v6, 0
	s_mov_b32 s19, s15
	s_branch .LBB1_5
.LBB1_4:                                ;   in Loop: Header=BB1_5 Depth=1
	s_or_b64 exec, exec, s[6:7]
	s_add_i32 s14, s14, 2
	s_add_i32 s18, s18, 2
	s_add_i32 s19, s19, -2
	s_cmp_lg_u32 s19, 0
	s_cbranch_scc0 .LBB1_9
.LBB1_5:                                ; =>This Inner Loop Header: Depth=1
	s_and_saveexec_b64 s[6:7], s[0:1]
	s_cbranch_execz .LBB1_4
; %bb.6:                                ;   in Loop: Header=BB1_5 Depth=1
	s_mul_i32 s21, s14, s16
	s_mul_i32 s20, s18, s17
	v_add_u32_e32 v7, s21, v2
	v_add_u32_e32 v9, s20, v3
	v_mad_u64_u32 v[10:11], s[20:21], v7, s16, v[0:1]
	v_mov_b32_e32 v8, v1
	v_mov_b32_e32 v11, v6
	v_mad_u64_u32 v[8:9], s[20:21], v9, s17, v[8:9]
	v_lshlrev_b64 v[10:11], 2, v[10:11]
	v_mov_b32_e32 v7, s3
	v_add_co_u32_e32 v10, vcc, s2, v10
	v_mov_b32_e32 v9, v6
	v_addc_co_u32_e32 v11, vcc, v7, v11, vcc
	v_lshlrev_b64 v[8:9], 2, v[8:9]
	v_add_co_u32_e32 v8, vcc, s2, v8
	v_addc_co_u32_e32 v9, vcc, v7, v9, vcc
	global_store_dword v[10:11], v6, off
	global_store_dword v[8:9], v6, off
	s_branch .LBB1_4
.LBB1_7:
	s_mov_b64 s[6:7], 0
                                        ; implicit-def: $vgpr1
                                        ; implicit-def: $sgpr13
	s_cbranch_execnz .LBB1_11
.LBB1_8:
	s_mov_b32 s10, s13
	s_and_saveexec_b64 s[4:5], s[6:7]
	s_cbranch_execnz .LBB1_12
	s_branch .LBB1_16
.LBB1_9:
	s_cmp_lg_u32 s15, s9
	s_cselect_b64 s[6:7], -1, 0
	v_mov_b32_e32 v1, s15
	s_orn2_b64 s[6:7], s[6:7], exec
.LBB1_10:
	s_or_b64 exec, exec, s[4:5]
	s_branch .LBB1_8
.LBB1_11:
	v_mov_b32_e32 v1, 0
	s_or_b64 s[6:7], s[6:7], exec
	s_and_saveexec_b64 s[4:5], s[6:7]
	s_cbranch_execz .LBB1_16
.LBB1_12:
	v_mul_lo_u32 v0, v1, s8
	v_add3_u32 v0, v4, v0, s11
	v_mul_lo_u32 v0, s8, v0
	v_sub_u32_e32 v2, s9, v1
	v_add3_u32 v0, v5, v0, s12
	s_mov_b64 s[4:5], 0
	v_mov_b32_e32 v1, 0
	s_branch .LBB1_14
.LBB1_13:                               ;   in Loop: Header=BB1_14 Depth=1
	s_or_b64 exec, exec, s[6:7]
	v_add_u32_e32 v2, -1, v2
	v_cmp_eq_u32_e32 vcc, 0, v2
	s_or_b64 s[4:5], vcc, s[4:5]
	v_add_u32_e32 v0, s10, v0
	s_andn2_b64 exec, exec, s[4:5]
	s_cbranch_execz .LBB1_16
.LBB1_14:                               ; =>This Inner Loop Header: Depth=1
	s_and_saveexec_b64 s[6:7], s[0:1]
	s_cbranch_execz .LBB1_13
; %bb.15:                               ;   in Loop: Header=BB1_14 Depth=1
	v_lshlrev_b64 v[4:5], 2, v[0:1]
	v_mov_b32_e32 v3, s3
	v_add_co_u32_e32 v4, vcc, s2, v4
	v_addc_co_u32_e32 v5, vcc, v3, v5, vcc
	global_store_dword v[4:5], v1, off
	s_branch .LBB1_13
.LBB1_16:
	s_endpgm
	.section	.rodata,"a",@progbits
	.p2align	6, 0x0
	.amdhsa_kernel _Z4initiiPf
		.amdhsa_group_segment_fixed_size 0
		.amdhsa_private_segment_fixed_size 0
		.amdhsa_kernarg_size 272
		.amdhsa_user_sgpr_count 6
		.amdhsa_user_sgpr_private_segment_buffer 1
		.amdhsa_user_sgpr_dispatch_ptr 0
		.amdhsa_user_sgpr_queue_ptr 0
		.amdhsa_user_sgpr_kernarg_segment_ptr 1
		.amdhsa_user_sgpr_dispatch_id 0
		.amdhsa_user_sgpr_flat_scratch_init 0
		.amdhsa_user_sgpr_kernarg_preload_length 0
		.amdhsa_user_sgpr_kernarg_preload_offset 0
		.amdhsa_user_sgpr_private_segment_size 0
		.amdhsa_uses_dynamic_stack 0
		.amdhsa_system_sgpr_private_segment_wavefront_offset 0
		.amdhsa_system_sgpr_workgroup_id_x 1
		.amdhsa_system_sgpr_workgroup_id_y 1
		.amdhsa_system_sgpr_workgroup_id_z 0
		.amdhsa_system_sgpr_workgroup_info 0
		.amdhsa_system_vgpr_workitem_id 1
		.amdhsa_next_free_vgpr 12
		.amdhsa_next_free_sgpr 22
		.amdhsa_accum_offset 12
		.amdhsa_reserve_vcc 1
		.amdhsa_reserve_flat_scratch 0
		.amdhsa_float_round_mode_32 0
		.amdhsa_float_round_mode_16_64 0
		.amdhsa_float_denorm_mode_32 3
		.amdhsa_float_denorm_mode_16_64 3
		.amdhsa_dx10_clamp 1
		.amdhsa_ieee_mode 1
		.amdhsa_fp16_overflow 0
		.amdhsa_tg_split 0
		.amdhsa_exception_fp_ieee_invalid_op 0
		.amdhsa_exception_fp_denorm_src 0
		.amdhsa_exception_fp_ieee_div_zero 0
		.amdhsa_exception_fp_ieee_overflow 0
		.amdhsa_exception_fp_ieee_underflow 0
		.amdhsa_exception_fp_ieee_inexact 0
		.amdhsa_exception_int_div_zero 0
	.end_amdhsa_kernel
	.text
.Lfunc_end1:
	.size	_Z4initiiPf, .Lfunc_end1-_Z4initiiPf
                                        ; -- End function
	.section	.AMDGPU.csdata,"",@progbits
; Kernel info:
; codeLenInByte = 540
; NumSgprs: 26
; NumVgprs: 12
; NumAgprs: 0
; TotalNumVgprs: 12
; ScratchSize: 0
; MemoryBound: 0
; FloatMode: 240
; IeeeMode: 1
; LDSByteSize: 0 bytes/workgroup (compile time only)
; SGPRBlocks: 3
; VGPRBlocks: 1
; NumSGPRsForWavesPerEU: 26
; NumVGPRsForWavesPerEU: 12
; AccumOffset: 12
; Occupancy: 8
; WaveLimiterHint : 0
; COMPUTE_PGM_RSRC2:SCRATCH_EN: 0
; COMPUTE_PGM_RSRC2:USER_SGPR: 6
; COMPUTE_PGM_RSRC2:TRAP_HANDLER: 0
; COMPUTE_PGM_RSRC2:TGID_X_EN: 1
; COMPUTE_PGM_RSRC2:TGID_Y_EN: 1
; COMPUTE_PGM_RSRC2:TGID_Z_EN: 0
; COMPUTE_PGM_RSRC2:TIDIG_COMP_CNT: 1
; COMPUTE_PGM_RSRC3_GFX90A:ACCUM_OFFSET: 2
; COMPUTE_PGM_RSRC3_GFX90A:TG_SPLIT: 0
	.text
	.p2alignl 6, 3212836864
	.fill 256, 4, 3212836864
	.type	__hip_cuid_2d3f1978bf3dbe10,@object ; @__hip_cuid_2d3f1978bf3dbe10
	.section	.bss,"aw",@nobits
	.globl	__hip_cuid_2d3f1978bf3dbe10
__hip_cuid_2d3f1978bf3dbe10:
	.byte	0                               ; 0x0
	.size	__hip_cuid_2d3f1978bf3dbe10, 1

	.ident	"AMD clang version 19.0.0git (https://github.com/RadeonOpenCompute/llvm-project roc-6.4.0 25133 c7fe45cf4b819c5991fe208aaa96edf142730f1d)"
	.section	".note.GNU-stack","",@progbits
	.addrsig
	.addrsig_sym __hip_cuid_2d3f1978bf3dbe10
	.amdgpu_metadata
---
amdhsa.kernels:
  - .agpr_count:     0
    .args:
      - .offset:         0
        .size:           4
        .value_kind:     by_value
      - .offset:         4
        .size:           4
        .value_kind:     by_value
      - .address_space:  global
        .offset:         8
        .size:           8
        .value_kind:     global_buffer
      - .address_space:  global
        .offset:         16
        .size:           8
        .value_kind:     global_buffer
      - .address_space:  global
        .offset:         24
        .size:           8
        .value_kind:     global_buffer
      - .offset:         32
        .size:           4
        .value_kind:     hidden_block_count_x
      - .offset:         36
        .size:           4
        .value_kind:     hidden_block_count_y
      - .offset:         40
        .size:           4
        .value_kind:     hidden_block_count_z
      - .offset:         44
        .size:           2
        .value_kind:     hidden_group_size_x
      - .offset:         46
        .size:           2
        .value_kind:     hidden_group_size_y
      - .offset:         48
        .size:           2
        .value_kind:     hidden_group_size_z
      - .offset:         50
        .size:           2
        .value_kind:     hidden_remainder_x
      - .offset:         52
        .size:           2
        .value_kind:     hidden_remainder_y
      - .offset:         54
        .size:           2
        .value_kind:     hidden_remainder_z
      - .offset:         72
        .size:           8
        .value_kind:     hidden_global_offset_x
      - .offset:         80
        .size:           8
        .value_kind:     hidden_global_offset_y
      - .offset:         88
        .size:           8
        .value_kind:     hidden_global_offset_z
      - .offset:         96
        .size:           2
        .value_kind:     hidden_grid_dims
    .group_segment_fixed_size: 0
    .kernarg_segment_align: 8
    .kernarg_segment_size: 288
    .language:       OpenCL C
    .language_version:
      - 2
      - 0
    .max_flat_workgroup_size: 1024
    .name:           _Z4initiiPfS_S_
    .private_segment_fixed_size: 0
    .sgpr_count:     18
    .sgpr_spill_count: 0
    .symbol:         _Z4initiiPfS_S_.kd
    .uniform_work_group_size: 1
    .uses_dynamic_stack: false
    .vgpr_count:     8
    .vgpr_spill_count: 0
    .wavefront_size: 64
  - .agpr_count:     0
    .args:
      - .offset:         0
        .size:           4
        .value_kind:     by_value
      - .offset:         4
        .size:           4
        .value_kind:     by_value
      - .address_space:  global
        .offset:         8
        .size:           8
        .value_kind:     global_buffer
      - .offset:         16
        .size:           4
        .value_kind:     hidden_block_count_x
      - .offset:         20
        .size:           4
        .value_kind:     hidden_block_count_y
      - .offset:         24
        .size:           4
        .value_kind:     hidden_block_count_z
      - .offset:         28
        .size:           2
        .value_kind:     hidden_group_size_x
      - .offset:         30
        .size:           2
        .value_kind:     hidden_group_size_y
      - .offset:         32
        .size:           2
        .value_kind:     hidden_group_size_z
      - .offset:         34
        .size:           2
        .value_kind:     hidden_remainder_x
      - .offset:         36
        .size:           2
        .value_kind:     hidden_remainder_y
      - .offset:         38
        .size:           2
        .value_kind:     hidden_remainder_z
      - .offset:         56
        .size:           8
        .value_kind:     hidden_global_offset_x
      - .offset:         64
        .size:           8
        .value_kind:     hidden_global_offset_y
      - .offset:         72
        .size:           8
        .value_kind:     hidden_global_offset_z
      - .offset:         80
        .size:           2
        .value_kind:     hidden_grid_dims
    .group_segment_fixed_size: 0
    .kernarg_segment_align: 8
    .kernarg_segment_size: 272
    .language:       OpenCL C
    .language_version:
      - 2
      - 0
    .max_flat_workgroup_size: 1024
    .name:           _Z4initiiPf
    .private_segment_fixed_size: 0
    .sgpr_count:     26
    .sgpr_spill_count: 0
    .symbol:         _Z4initiiPf.kd
    .uniform_work_group_size: 1
    .uses_dynamic_stack: false
    .vgpr_count:     12
    .vgpr_spill_count: 0
    .wavefront_size: 64
amdhsa.target:   amdgcn-amd-amdhsa--gfx90a
amdhsa.version:
  - 1
  - 2
...

	.end_amdgpu_metadata
